;; amdgpu-corpus repo=ROCm/rocFFT kind=compiled arch=gfx950 opt=O3
	.text
	.amdgcn_target "amdgcn-amd-amdhsa--gfx950"
	.amdhsa_code_object_version 6
	.protected	fft_rtc_back_len280_factors_8_7_5_wgs_56_tpt_56_half_ip_CI_unitstride_sbrr_R2C_dirReg ; -- Begin function fft_rtc_back_len280_factors_8_7_5_wgs_56_tpt_56_half_ip_CI_unitstride_sbrr_R2C_dirReg
	.globl	fft_rtc_back_len280_factors_8_7_5_wgs_56_tpt_56_half_ip_CI_unitstride_sbrr_R2C_dirReg
	.p2align	8
	.type	fft_rtc_back_len280_factors_8_7_5_wgs_56_tpt_56_half_ip_CI_unitstride_sbrr_R2C_dirReg,@function
fft_rtc_back_len280_factors_8_7_5_wgs_56_tpt_56_half_ip_CI_unitstride_sbrr_R2C_dirReg: ; @fft_rtc_back_len280_factors_8_7_5_wgs_56_tpt_56_half_ip_CI_unitstride_sbrr_R2C_dirReg
; %bb.0:
	s_load_dwordx2 s[8:9], s[0:1], 0x50
	s_load_dwordx4 s[4:7], s[0:1], 0x0
	s_load_dwordx2 s[10:11], s[0:1], 0x18
	v_mul_u32_u24_e32 v1, 0x493, v0
	v_add_u32_sdwa v6, s2, v1 dst_sel:DWORD dst_unused:UNUSED_PAD src0_sel:DWORD src1_sel:WORD_1
	v_mov_b32_e32 v4, 0
	s_waitcnt lgkmcnt(0)
	v_cmp_lt_u64_e64 s[2:3], s[6:7], 2
	v_mov_b32_e32 v7, v4
	s_and_b64 vcc, exec, s[2:3]
	v_mov_b64_e32 v[2:3], 0
	s_cbranch_vccnz .LBB0_8
; %bb.1:
	s_load_dwordx2 s[2:3], s[0:1], 0x10
	s_add_u32 s12, s10, 8
	s_addc_u32 s13, s11, 0
	s_mov_b64 s[14:15], 1
	v_mov_b64_e32 v[2:3], 0
	s_waitcnt lgkmcnt(0)
	s_add_u32 s16, s2, 8
	s_addc_u32 s17, s3, 0
.LBB0_2:                                ; =>This Inner Loop Header: Depth=1
	s_load_dwordx2 s[18:19], s[16:17], 0x0
                                        ; implicit-def: $vgpr8_vgpr9
	s_waitcnt lgkmcnt(0)
	v_or_b32_e32 v5, s19, v7
	v_cmp_ne_u64_e32 vcc, 0, v[4:5]
	s_and_saveexec_b64 s[2:3], vcc
	s_xor_b64 s[20:21], exec, s[2:3]
	s_cbranch_execz .LBB0_4
; %bb.3:                                ;   in Loop: Header=BB0_2 Depth=1
	v_cvt_f32_u32_e32 v1, s18
	v_cvt_f32_u32_e32 v5, s19
	s_sub_u32 s2, 0, s18
	s_subb_u32 s3, 0, s19
	v_fmac_f32_e32 v1, 0x4f800000, v5
	v_rcp_f32_e32 v1, v1
	s_nop 0
	v_mul_f32_e32 v1, 0x5f7ffffc, v1
	v_mul_f32_e32 v5, 0x2f800000, v1
	v_trunc_f32_e32 v5, v5
	v_fmac_f32_e32 v1, 0xcf800000, v5
	v_cvt_u32_f32_e32 v5, v5
	v_cvt_u32_f32_e32 v1, v1
	v_mul_lo_u32 v8, s2, v5
	v_mul_hi_u32 v10, s2, v1
	v_mul_lo_u32 v9, s3, v1
	v_add_u32_e32 v10, v10, v8
	v_mul_lo_u32 v12, s2, v1
	v_add_u32_e32 v13, v10, v9
	v_mul_hi_u32 v8, v1, v12
	v_mul_hi_u32 v11, v1, v13
	v_mul_lo_u32 v10, v1, v13
	v_mov_b32_e32 v9, v4
	v_lshl_add_u64 v[8:9], v[8:9], 0, v[10:11]
	v_mul_hi_u32 v11, v5, v12
	v_mul_lo_u32 v12, v5, v12
	v_add_co_u32_e32 v8, vcc, v8, v12
	v_mul_hi_u32 v10, v5, v13
	s_nop 0
	v_addc_co_u32_e32 v8, vcc, v9, v11, vcc
	v_mov_b32_e32 v9, v4
	s_nop 0
	v_addc_co_u32_e32 v11, vcc, 0, v10, vcc
	v_mul_lo_u32 v10, v5, v13
	v_lshl_add_u64 v[8:9], v[8:9], 0, v[10:11]
	v_add_co_u32_e32 v1, vcc, v1, v8
	v_mul_lo_u32 v10, s2, v1
	s_nop 0
	v_addc_co_u32_e32 v5, vcc, v5, v9, vcc
	v_mul_lo_u32 v8, s2, v5
	v_mul_hi_u32 v9, s2, v1
	v_add_u32_e32 v8, v9, v8
	v_mul_lo_u32 v9, s3, v1
	v_add_u32_e32 v12, v8, v9
	v_mul_hi_u32 v14, v5, v10
	v_mul_lo_u32 v15, v5, v10
	v_mul_hi_u32 v9, v1, v12
	v_mul_lo_u32 v8, v1, v12
	v_mul_hi_u32 v10, v1, v10
	v_mov_b32_e32 v11, v4
	v_lshl_add_u64 v[8:9], v[10:11], 0, v[8:9]
	v_add_co_u32_e32 v8, vcc, v8, v15
	v_mul_hi_u32 v13, v5, v12
	s_nop 0
	v_addc_co_u32_e32 v8, vcc, v9, v14, vcc
	v_mul_lo_u32 v10, v5, v12
	s_nop 0
	v_addc_co_u32_e32 v11, vcc, 0, v13, vcc
	v_mov_b32_e32 v9, v4
	v_lshl_add_u64 v[8:9], v[8:9], 0, v[10:11]
	v_add_co_u32_e32 v1, vcc, v1, v8
	v_mul_hi_u32 v10, v6, v1
	s_nop 0
	v_addc_co_u32_e32 v5, vcc, v5, v9, vcc
	v_mad_u64_u32 v[8:9], s[2:3], v6, v5, 0
	v_mov_b32_e32 v11, v4
	v_lshl_add_u64 v[8:9], v[10:11], 0, v[8:9]
	v_mad_u64_u32 v[12:13], s[2:3], v7, v1, 0
	v_add_co_u32_e32 v1, vcc, v8, v12
	v_mad_u64_u32 v[10:11], s[2:3], v7, v5, 0
	s_nop 0
	v_addc_co_u32_e32 v8, vcc, v9, v13, vcc
	v_mov_b32_e32 v9, v4
	s_nop 0
	v_addc_co_u32_e32 v11, vcc, 0, v11, vcc
	v_lshl_add_u64 v[8:9], v[8:9], 0, v[10:11]
	v_mul_lo_u32 v1, s19, v8
	v_mul_lo_u32 v5, s18, v9
	v_mad_u64_u32 v[10:11], s[2:3], s18, v8, 0
	v_add3_u32 v1, v11, v5, v1
	v_sub_u32_e32 v5, v7, v1
	v_mov_b32_e32 v11, s19
	v_sub_co_u32_e32 v14, vcc, v6, v10
	v_lshl_add_u64 v[12:13], v[8:9], 0, 1
	s_nop 0
	v_subb_co_u32_e64 v5, s[2:3], v5, v11, vcc
	v_subrev_co_u32_e64 v10, s[2:3], s18, v14
	v_subb_co_u32_e32 v1, vcc, v7, v1, vcc
	s_nop 0
	v_subbrev_co_u32_e64 v5, s[2:3], 0, v5, s[2:3]
	v_cmp_le_u32_e64 s[2:3], s19, v5
	v_cmp_le_u32_e32 vcc, s19, v1
	s_nop 0
	v_cndmask_b32_e64 v11, 0, -1, s[2:3]
	v_cmp_le_u32_e64 s[2:3], s18, v10
	s_nop 1
	v_cndmask_b32_e64 v10, 0, -1, s[2:3]
	v_cmp_eq_u32_e64 s[2:3], s19, v5
	s_nop 1
	v_cndmask_b32_e64 v5, v11, v10, s[2:3]
	v_lshl_add_u64 v[10:11], v[8:9], 0, 2
	v_cmp_ne_u32_e64 s[2:3], 0, v5
	s_nop 1
	v_cndmask_b32_e64 v5, v13, v11, s[2:3]
	v_cndmask_b32_e64 v11, 0, -1, vcc
	v_cmp_le_u32_e32 vcc, s18, v14
	s_nop 1
	v_cndmask_b32_e64 v13, 0, -1, vcc
	v_cmp_eq_u32_e32 vcc, s19, v1
	s_nop 1
	v_cndmask_b32_e32 v1, v11, v13, vcc
	v_cmp_ne_u32_e32 vcc, 0, v1
	v_cndmask_b32_e64 v1, v12, v10, s[2:3]
	s_nop 0
	v_cndmask_b32_e32 v9, v9, v5, vcc
	v_cndmask_b32_e32 v8, v8, v1, vcc
.LBB0_4:                                ;   in Loop: Header=BB0_2 Depth=1
	s_andn2_saveexec_b64 s[2:3], s[20:21]
	s_cbranch_execz .LBB0_6
; %bb.5:                                ;   in Loop: Header=BB0_2 Depth=1
	v_cvt_f32_u32_e32 v1, s18
	s_sub_i32 s20, 0, s18
	v_rcp_iflag_f32_e32 v1, v1
	s_nop 0
	v_mul_f32_e32 v1, 0x4f7ffffe, v1
	v_cvt_u32_f32_e32 v1, v1
	v_mul_lo_u32 v5, s20, v1
	v_mul_hi_u32 v5, v1, v5
	v_add_u32_e32 v1, v1, v5
	v_mul_hi_u32 v1, v6, v1
	v_mul_lo_u32 v5, v1, s18
	v_sub_u32_e32 v5, v6, v5
	v_add_u32_e32 v8, 1, v1
	v_subrev_u32_e32 v9, s18, v5
	v_cmp_le_u32_e32 vcc, s18, v5
	s_nop 1
	v_cndmask_b32_e32 v5, v5, v9, vcc
	v_cndmask_b32_e32 v1, v1, v8, vcc
	v_add_u32_e32 v8, 1, v1
	v_cmp_le_u32_e32 vcc, s18, v5
	v_mov_b32_e32 v9, v4
	s_nop 0
	v_cndmask_b32_e32 v8, v1, v8, vcc
.LBB0_6:                                ;   in Loop: Header=BB0_2 Depth=1
	s_or_b64 exec, exec, s[2:3]
	v_mad_u64_u32 v[10:11], s[2:3], v8, s18, 0
	s_load_dwordx2 s[2:3], s[12:13], 0x0
	v_mul_lo_u32 v1, v9, s18
	v_mul_lo_u32 v5, v8, s19
	v_add3_u32 v1, v11, v5, v1
	v_sub_co_u32_e32 v5, vcc, v6, v10
	s_add_u32 s14, s14, 1
	s_nop 0
	v_subb_co_u32_e32 v1, vcc, v7, v1, vcc
	s_addc_u32 s15, s15, 0
	s_waitcnt lgkmcnt(0)
	v_mul_lo_u32 v1, s2, v1
	v_mul_lo_u32 v6, s3, v5
	v_mad_u64_u32 v[2:3], s[2:3], s2, v5, v[2:3]
	s_add_u32 s12, s12, 8
	v_add3_u32 v3, v6, v3, v1
	s_addc_u32 s13, s13, 0
	v_mov_b64_e32 v[6:7], s[6:7]
	s_add_u32 s16, s16, 8
	v_cmp_ge_u64_e32 vcc, s[14:15], v[6:7]
	s_addc_u32 s17, s17, 0
	s_cbranch_vccnz .LBB0_9
; %bb.7:                                ;   in Loop: Header=BB0_2 Depth=1
	v_mov_b64_e32 v[6:7], v[8:9]
	s_branch .LBB0_2
.LBB0_8:
	v_mov_b64_e32 v[8:9], v[6:7]
.LBB0_9:
	s_lshl_b64 s[2:3], s[6:7], 3
	s_add_u32 s2, s10, s2
	s_addc_u32 s3, s11, s3
	s_load_dwordx2 s[6:7], s[2:3], 0x0
	s_load_dwordx2 s[10:11], s[0:1], 0x20
	s_waitcnt lgkmcnt(0)
	v_mad_u64_u32 v[4:5], s[0:1], s6, v8, v[2:3]
	v_mul_lo_u32 v1, s6, v9
	v_mul_lo_u32 v6, s7, v8
	s_mov_b32 s0, 0x4924925
	v_add3_u32 v5, v6, v5, v1
	v_mul_hi_u32 v1, v0, s0
	v_mul_u32_u24_e32 v1, 56, v1
	v_sub_u32_e32 v2, v0, v1
	v_cmp_gt_u64_e32 vcc, s[10:11], v[8:9]
	v_lshl_add_u64 v[0:1], v[4:5], 2, s[8:9]
	v_lshl_add_u32 v10, v2, 2, 0
	s_and_saveexec_b64 s[0:1], vcc
	s_cbranch_execz .LBB0_11
; %bb.10:
	v_mov_b32_e32 v3, 0
	v_lshl_add_u64 v[4:5], v[2:3], 2, v[0:1]
	global_load_dword v3, v[4:5], off
	global_load_dword v6, v[4:5], off offset:224
	global_load_dword v7, v[4:5], off offset:448
	;; [unrolled: 1-line block ×4, first 2 shown]
	s_waitcnt vmcnt(3)
	ds_write2_b32 v10, v3, v6 offset1:56
	s_waitcnt vmcnt(1)
	ds_write2_b32 v10, v7, v8 offset0:112 offset1:168
	s_waitcnt vmcnt(0)
	ds_write_b32 v10, v9 offset:896
.LBB0_11:
	s_or_b64 exec, exec, s[0:1]
	s_waitcnt lgkmcnt(0)
	; wave barrier
	s_waitcnt lgkmcnt(0)
	ds_read2_b32 v[4:5], v10 offset1:35
	ds_read2_b32 v[6:7], v10 offset0:140 offset1:175
	ds_read2_b32 v[8:9], v10 offset0:70 offset1:105
	;; [unrolled: 1-line block ×3, first 2 shown]
	s_mov_b32 s0, 0xb9a8
	s_movk_i32 s1, 0x39a8
	s_waitcnt lgkmcnt(2)
	v_pk_add_f16 v7, v5, v7 neg_lo:[0,1] neg_hi:[0,1]
	v_pk_add_f16 v3, v4, v6 neg_lo:[0,1] neg_hi:[0,1]
	s_waitcnt lgkmcnt(0)
	v_pk_add_f16 v11, v9, v13 neg_lo:[0,1] neg_hi:[0,1]
	v_pk_add_f16 v6, v8, v12 neg_lo:[0,1] neg_hi:[0,1]
	v_pk_fma_f16 v5, v5, 2.0, v7 op_sel_hi:[1,0,1] neg_lo:[0,0,1] neg_hi:[0,0,1]
	v_pk_fma_f16 v9, v9, 2.0, v11 op_sel_hi:[1,0,1] neg_lo:[0,0,1] neg_hi:[0,0,1]
	v_add_f16_sdwa v17, v3, v6 dst_sel:DWORD dst_unused:UNUSED_PAD src0_sel:DWORD src1_sel:WORD_1
	v_pk_add_f16 v9, v5, v9 neg_lo:[0,1] neg_hi:[0,1]
	v_pk_fma_f16 v4, v4, 2.0, v3 op_sel_hi:[1,0,1] neg_lo:[0,0,1] neg_hi:[0,0,1]
	v_pk_fma_f16 v8, v8, 2.0, v6 op_sel_hi:[1,0,1] neg_lo:[0,0,1] neg_hi:[0,0,1]
	v_lshrrev_b32_e32 v12, 16, v3
	v_fma_f16 v13, v3, 2.0, -v17
	v_pk_fma_f16 v3, v5, 2.0, v9 op_sel_hi:[1,0,1] neg_lo:[0,0,1] neg_hi:[0,0,1]
	v_lshrrev_b32_e32 v5, 16, v7
	v_pk_add_f16 v8, v4, v8 neg_lo:[0,1] neg_hi:[0,1]
	v_sub_f16_e32 v18, v12, v6
	v_add_f16_sdwa v16, v7, v11 dst_sel:DWORD dst_unused:UNUSED_PAD src0_sel:DWORD src1_sel:WORD_1
	v_sub_f16_e32 v11, v5, v11
	v_pk_fma_f16 v4, v4, 2.0, v8 op_sel_hi:[1,0,1] neg_lo:[0,0,1] neg_hi:[0,0,1]
	v_fma_f16 v12, v12, 2.0, -v18
	v_fma_f16 v14, v7, 2.0, -v16
	;; [unrolled: 1-line block ×3, first 2 shown]
	v_pk_add_f16 v6, v4, v3 neg_lo:[0,1] neg_hi:[0,1]
	v_fma_f16 v3, v14, s0, v13
	v_fma_f16 v15, v5, s0, v12
	;; [unrolled: 1-line block ×4, first 2 shown]
	v_add_f16_e32 v5, v12, v12
	s_mov_b32 s2, 0xffff
	v_fma_f16 v12, v13, 2.0, -v7
	v_alignbit_b32 v13, s0, v9, 16
	v_bfi_b32 v5, s2, v5, v8
	v_pack_b32_f16 v9, v3, v9
	v_pk_add_f16 v13, v8, v13
	v_pk_add_f16 v5, v5, v9 neg_lo:[0,1] neg_hi:[0,1]
	v_fma_f16 v9, v16, s1, v17
	v_fma_f16 v19, v11, s1, v18
	v_bfi_b32 v14, s2, v13, v5
	v_fma_f16 v15, v11, s1, v9
	v_fma_f16 v16, v16, s0, v19
	v_pk_fma_f16 v4, v4, 2.0, v6 op_sel_hi:[1,0,1] neg_lo:[0,0,1] neg_hi:[0,0,1]
	v_pk_fma_f16 v8, v8, 2.0, v14 op_sel_hi:[1,0,1] neg_lo:[0,0,1] neg_hi:[0,0,1]
	v_fma_f16 v9, v17, 2.0, -v15
	v_fma_f16 v11, v18, 2.0, -v16
	v_cmp_gt_u32_e64 s[0:1], 35, v2
	s_waitcnt lgkmcnt(0)
	; wave barrier
	s_and_saveexec_b64 s[2:3], s[0:1]
	s_cbranch_execz .LBB0_13
; %bb.12:
	s_mov_b32 s0, 0x5040100
	v_mad_u32_u24 v17, v2, 28, v10
	v_perm_b32 v18, v5, v12, s0
	ds_write2_b32 v17, v4, v18 offset1:1
	v_perm_b32 v18, v11, v9, s0
	ds_write2_b32 v17, v8, v18 offset0:2 offset1:3
	v_perm_b32 v18, v3, v7, s0
	v_perm_b32 v15, v16, v15, s0
	ds_write2_b32 v17, v6, v18 offset0:4 offset1:5
	ds_write2_b32 v17, v14, v15 offset0:6 offset1:7
.LBB0_13:
	s_or_b64 exec, exec, s[2:3]
	s_mov_b32 s6, 0x5040100
	v_cmp_gt_u32_e64 s[0:1], 40, v2
	v_alignbit_b32 v6, v6, v6, 16
	v_perm_b32 v12, v13, v12, s6
	s_waitcnt lgkmcnt(0)
	; wave barrier
	s_waitcnt lgkmcnt(0)
	s_and_saveexec_b64 s[2:3], s[0:1]
	s_cbranch_execz .LBB0_15
; %bb.14:
	ds_read2_b32 v[8:9], v10 offset0:80 offset1:120
	ds_read2_b32 v[6:7], v10 offset0:160 offset1:200
	ds_read2_b32 v[4:5], v10 offset1:40
	ds_read_b32 v13, v10 offset:960
	s_waitcnt lgkmcnt(3)
	v_lshrrev_b32_e32 v11, 16, v9
	s_waitcnt lgkmcnt(2)
	v_alignbit_b32 v6, v6, v6, 16
	v_lshrrev_b32_e32 v3, 16, v7
	s_waitcnt lgkmcnt(0)
	v_perm_b32 v12, v13, v5, s6
	s_mov_b32 s6, 0x7060302
	v_perm_b32 v5, v13, v5, s6
.LBB0_15:
	s_or_b64 exec, exec, s[2:3]
	s_waitcnt lgkmcnt(0)
	; wave barrier
	s_and_saveexec_b64 s[2:3], s[0:1]
	s_cbranch_execz .LBB0_17
; %bb.16:
	v_and_b32_e32 v13, 7, v2
	v_mul_u32_u24_e32 v14, 6, v13
	v_lshlrev_b32_e32 v20, 2, v14
	global_load_dwordx4 v[14:17], v20, s[4:5]
	global_load_dwordx2 v[18:19], v20, s[4:5] offset:16
	s_mov_b32 s0, 0x5040100
	s_mov_b32 s1, 0x7060302
	v_lshrrev_b32_e32 v23, 3, v2
	v_mul_u32_u24_e32 v23, 56, v23
	v_alignbit_b32 v20, s0, v6, 16
	v_lshrrev_b32_e32 v21, 16, v5
	v_alignbit_b32 v22, s0, v8, 16
	v_or_b32_e32 v13, v23, v13
	s_mov_b32 s6, 0xb574
	s_mov_b32 s8, 0xbb00
	s_movk_i32 s9, 0x3574
	s_mov_b32 s7, 0xb70e
	s_movk_i32 s10, 0x2b26
	v_lshl_add_u32 v13, v13, 2, 0
	s_waitcnt vmcnt(1)
	v_mul_f16_e32 v26, v9, v16
	s_waitcnt vmcnt(0)
	v_perm_b32 v24, v19, v14, s1
	v_mul_f16_sdwa v9, v9, v16 dst_sel:DWORD dst_unused:UNUSED_PAD src0_sel:DWORD src1_sel:WORD_1
	v_pk_mul_f16 v32, v6, v17
	v_alignbit_b32 v34, s0, v15, 16
	v_perm_b32 v23, v19, v14, s0
	v_alignbit_b32 v25, s0, v17, 16
	v_mul_f16_sdwa v27, v11, v16 dst_sel:DWORD dst_unused:UNUSED_PAD src0_sel:DWORD src1_sel:WORD_1
	v_pk_mul_f16 v28, v8, v15
	v_mul_f16_sdwa v30, v12, v19 dst_sel:DWORD dst_unused:UNUSED_PAD src0_sel:WORD_1 src1_sel:WORD_1
	v_mul_f16_sdwa v31, v12, v14 dst_sel:DWORD dst_unused:UNUSED_PAD src0_sel:DWORD src1_sel:WORD_1
	v_mul_f16_sdwa v33, v7, v18 dst_sel:DWORD dst_unused:UNUSED_PAD src0_sel:DWORD src1_sel:WORD_1
	v_pk_mul_f16 v24, v5, v24
	v_fma_f16 v9, v11, v16, -v9
	v_alignbit_b32 v11, s0, v32, 16
	v_pk_mul_f16 v8, v8, v34
	v_pk_mul_f16 v20, v20, v17
	v_mul_f16_sdwa v29, v3, v18 dst_sel:DWORD dst_unused:UNUSED_PAD src0_sel:DWORD src1_sel:WORD_1
	v_pk_mul_f16 v25, v6, v25
	v_fma_f16 v19, v21, v19, -v30
	v_fma_f16 v5, v5, v14, -v31
	;; [unrolled: 1-line block ×3, first 2 shown]
	v_pk_fma_f16 v12, v12, v23, v24
	v_pk_fma_f16 v6, v6, v17, v11 neg_lo:[0,0,1] neg_hi:[0,0,1]
	v_pk_fma_f16 v8, v22, v15, v8 neg_lo:[0,0,1] neg_hi:[0,0,1]
	v_add_f16_sdwa v28, v28, v28 dst_sel:DWORD dst_unused:UNUSED_PAD src0_sel:DWORD src1_sel:WORD_1
	v_fma_f16 v7, v7, v18, v29
	v_sub_f16_e32 v11, v5, v19
	v_pack_b32_f16 v5, v20, v5
	v_pack_b32_f16 v15, v25, v19
	;; [unrolled: 1-line block ×3, first 2 shown]
	v_alignbit_b32 v17, s0, v12, 16
	v_sub_f16_e32 v19, v6, v9
	v_sub_f16_e32 v3, v8, v3
	v_pack_b32_f16 v8, v26, v8
	v_sub_f16_e32 v14, v28, v7
	v_add_f16_e32 v7, v28, v7
	v_sub_f16_sdwa v18, v12, v12 dst_sel:DWORD dst_unused:UNUSED_PAD src0_sel:DWORD src1_sel:WORD_1
	v_pk_add_f16 v5, v5, v15
	v_pk_add_f16 v12, v12, v17
	v_sub_f16_e32 v15, v11, v19
	v_sub_f16_e32 v17, v19, v3
	v_add_f16_e32 v19, v19, v3
	v_sub_f16_e32 v3, v3, v11
	v_pk_add_f16 v8, v8, v16
	v_pack_b32_f16 v9, v7, v9
	v_mul_f16_e32 v16, 0x3846, v17
	v_mul_f16_e32 v21, 0xbb00, v3
	v_sub_f16_e32 v22, v5, v8
	v_pack_b32_f16 v6, v12, v6
	v_sub_f16_e32 v20, v14, v18
	v_add_f16_e32 v11, v19, v11
	v_pk_add_f16 v23, v8, v5
	v_fma_f16 v24, v15, s6, v16
	v_fma_f16 v15, v15, s9, -v21
	v_fma_f16 v3, v3, s8, -v16
	v_sub_f16_e32 v21, v22, v14
	v_add_f16_e32 v14, v22, v14
	v_pk_add_f16 v6, v9, v6
	v_sub_f16_e32 v16, v18, v22
	v_fma_f16 v9, v11, s7, v24
	v_fma_f16 v15, v11, s7, v15
	;; [unrolled: 1-line block ×3, first 2 shown]
	v_mul_f16_e32 v11, 0x3846, v21
	v_add_f16_e32 v14, v14, v18
	v_sub_f16_sdwa v18, v5, v6 dst_sel:DWORD dst_unused:UNUSED_PAD src0_sel:WORD_1 src1_sel:WORD_1
	v_sub_f16_sdwa v21, v6, v8 dst_sel:DWORD dst_unused:UNUSED_PAD src0_sel:WORD_1 src1_sel:WORD_1
	v_pk_add_f16 v6, v6, v23
	v_sub_f16_e32 v19, v7, v12
	v_pk_add_f16 v4, v4, v6
	v_lshrrev_b32_e32 v25, 16, v6
	v_lshrrev_b32_e32 v26, 16, v4
	s_mov_b32 s0, 0xbcab
	v_sub_f16_e32 v12, v12, v23
	v_mul_f16_e32 v18, 0x3a52, v18
	v_fma_f16 v25, v25, s0, v26
	v_mul_f16_e32 v12, 0x3a52, v12
	v_sub_f16_e32 v7, v23, v7
	v_fma_f16 v6, v6, s0, v4
	v_sub_f16_sdwa v5, v8, v5 dst_sel:DWORD dst_unused:UNUSED_PAD src0_sel:WORD_1 src1_sel:WORD_1
	s_mov_b32 s0, 0xb9e0
	v_mul_f16_e32 v24, 0x2b26, v21
	v_mul_f16_e32 v23, 0x2b26, v7
	v_fma_f16 v7, v7, s10, v12
	v_fma_f16 v8, v5, s0, -v18
	v_fma_f16 v12, v19, s0, -v12
	s_movk_i32 s0, 0x39e0
	v_mul_f16_e32 v17, 0xbb00, v20
	v_fma_f16 v22, v16, s6, v11
	v_fma_f16 v21, v21, s10, v18
	v_fma_f16 v5, v5, s0, -v24
	v_fma_f16 v11, v20, s8, -v11
	v_fma_f16 v22, v14, s7, v22
	v_add_f16_e32 v21, v21, v25
	v_add_f16_e32 v7, v7, v6
	v_fma_f16 v16, v16, s9, -v17
	v_add_f16_e32 v5, v5, v25
	v_fma_f16 v11, v14, s7, v11
	v_fma_f16 v19, v19, s0, -v23
	v_sub_f16_e32 v27, v7, v9
	v_fma_f16 v16, v14, s7, v16
	v_add_f16_e32 v8, v8, v25
	v_add_f16_e32 v12, v12, v6
	v_sub_f16_e32 v14, v5, v11
	v_add_f16_e32 v6, v19, v6
	v_add_f16_e32 v5, v11, v5
	v_sub_f16_e32 v11, v21, v22
	v_add_f16_e32 v7, v9, v7
	v_add_f16_e32 v17, v16, v8
	;; [unrolled: 1-line block ×3, first 2 shown]
	v_sub_f16_e32 v3, v6, v3
	v_sub_f16_e32 v6, v8, v16
	v_add_f16_e32 v8, v15, v12
	v_pack_b32_f16 v7, v7, v11
	v_sub_f16_e32 v18, v12, v15
	ds_write2_b32 v13, v4, v7 offset1:8
	v_pack_b32_f16 v4, v8, v6
	v_pack_b32_f16 v3, v3, v5
	v_add_f16_e32 v26, v22, v21
	ds_write2_b32 v13, v4, v3 offset0:16 offset1:24
	v_pack_b32_f16 v3, v19, v14
	v_pack_b32_f16 v4, v18, v17
	ds_write2_b32 v13, v3, v4 offset0:32 offset1:40
	v_pack_b32_f16 v3, v27, v26
	ds_write_b32 v13, v3 offset:192
.LBB0_17:
	s_or_b64 exec, exec, s[2:3]
	v_lshlrev_b32_e32 v4, 2, v2
	v_mov_b32_e32 v5, 0
	v_lshl_add_u64 v[6:7], v[4:5], 2, s[4:5]
	s_waitcnt lgkmcnt(0)
	; wave barrier
	s_waitcnt lgkmcnt(0)
	global_load_dwordx4 v[6:9], v[6:7], off offset:192
	ds_read2_b32 v[12:13], v10 offset1:56
	ds_read2_b32 v[14:15], v10 offset0:112 offset1:168
	ds_read_u16 v3, v10 offset:2
	ds_read_b32 v11, v10 offset:896
	s_mov_b32 s0, 0xbb9c
	s_waitcnt lgkmcnt(3)
	v_lshrrev_b32_e32 v16, 16, v13
	s_waitcnt lgkmcnt(2)
	v_lshrrev_b32_e32 v17, 16, v14
	v_lshrrev_b32_e32 v18, 16, v15
	s_waitcnt lgkmcnt(0)
	v_lshrrev_b32_e32 v19, 16, v11
	s_movk_i32 s3, 0x3b9c
	s_mov_b32 s1, 0xb8b4
	s_movk_i32 s6, 0x38b4
	s_movk_i32 s2, 0x34f2
	s_waitcnt lgkmcnt(0)
	; wave barrier
	s_waitcnt vmcnt(0)
	v_mul_f16_sdwa v20, v6, v16 dst_sel:DWORD dst_unused:UNUSED_PAD src0_sel:WORD_1 src1_sel:DWORD
	v_mul_f16_sdwa v21, v6, v13 dst_sel:DWORD dst_unused:UNUSED_PAD src0_sel:WORD_1 src1_sel:DWORD
	;; [unrolled: 1-line block ×8, first 2 shown]
	v_fma_f16 v13, v6, v13, v20
	v_fma_f16 v6, v6, v16, -v21
	v_fma_f16 v14, v7, v14, v22
	v_fma_f16 v7, v7, v17, -v23
	v_fma_f16 v15, v8, v15, v24
	v_fma_f16 v8, v8, v18, -v25
	v_fma_f16 v11, v9, v11, v26
	v_fma_f16 v9, v9, v19, -v27
	v_add_f16_e32 v16, v13, v12
	v_add_f16_e32 v17, v14, v15
	v_sub_f16_e32 v20, v13, v14
	v_sub_f16_e32 v21, v11, v15
	v_add_f16_e32 v25, v3, v6
	v_add_f16_e32 v26, v7, v8
	v_sub_f16_e32 v18, v6, v9
	v_sub_f16_e32 v19, v7, v8
	v_add_f16_e32 v22, v13, v11
	v_sub_f16_e32 v23, v14, v13
	v_sub_f16_e32 v13, v13, v11
	;; [unrolled: 1-line block ×4, first 2 shown]
	v_add_f16_e32 v30, v6, v9
	v_sub_f16_e32 v6, v7, v6
	v_add_f16_e32 v14, v16, v14
	v_fma_f16 v16, v17, -0.5, v12
	v_add_f16_e32 v17, v20, v21
	v_add_f16_e32 v7, v25, v7
	v_fma_f16 v21, v26, -0.5, v3
	v_sub_f16_e32 v24, v15, v11
	v_sub_f16_e32 v29, v9, v8
	;; [unrolled: 1-line block ×3, first 2 shown]
	v_fma_f16 v12, v22, -0.5, v12
	v_fma_f16 v3, v30, -0.5, v3
	v_add_f16_e32 v14, v14, v15
	v_fma_f16 v15, v18, s0, v16
	v_add_f16_e32 v7, v7, v8
	v_fma_f16 v8, v13, s3, v21
	v_add_f16_e32 v20, v23, v24
	v_add_f16_e32 v22, v28, v29
	v_fma_f16 v16, v18, s3, v16
	v_fma_f16 v23, v19, s3, v12
	;; [unrolled: 1-line block ×5, first 2 shown]
	v_add_f16_e32 v11, v14, v11
	v_fma_f16 v14, v19, s1, v15
	v_fma_f16 v8, v27, s6, v8
	v_add_f16_e32 v6, v6, v31
	v_fma_f16 v21, v13, s0, v21
	v_fma_f16 v15, v19, s6, v16
	;; [unrolled: 1-line block ×4, first 2 shown]
	v_add_f16_e32 v7, v7, v9
	v_fma_f16 v18, v13, s6, v24
	v_fma_f16 v14, v17, s2, v14
	;; [unrolled: 1-line block ×10, first 2 shown]
	v_pack_b32_f16 v6, v11, v7
	v_pack_b32_f16 v7, v14, v8
	v_fma_f16 v9, v22, s2, v9
	ds_write2_b32 v10, v6, v7 offset1:56
	v_pack_b32_f16 v6, v16, v17
	v_pack_b32_f16 v3, v12, v3
	ds_write2_b32 v10, v6, v3 offset0:112 offset1:168
	v_pack_b32_f16 v3, v15, v9
	ds_write_b32 v10, v3 offset:896
	s_waitcnt lgkmcnt(0)
	; wave barrier
	s_waitcnt lgkmcnt(0)
	ds_read_b32 v9, v10
	v_sub_u32_e32 v8, 0, v4
	v_cmp_ne_u32_e64 s[0:1], 0, v2
                                        ; implicit-def: $vgpr12
                                        ; implicit-def: $vgpr11
                                        ; implicit-def: $vgpr6_vgpr7
	s_and_saveexec_b64 s[2:3], s[0:1]
	s_xor_b64 s[0:1], exec, s[2:3]
	s_cbranch_execz .LBB0_19
; %bb.18:
	v_mov_b32_e32 v3, v5
	v_lshl_add_u64 v[4:5], v[2:3], 2, s[4:5]
	global_load_dword v4, v[4:5], off offset:1088
	ds_read_b32 v5, v8 offset:1120
	s_waitcnt lgkmcnt(0)
	v_add_f16_e32 v6, v5, v9
	v_add_f16_sdwa v7, v5, v9 dst_sel:DWORD dst_unused:UNUSED_PAD src0_sel:WORD_1 src1_sel:WORD_1
	v_sub_f16_e32 v11, v9, v5
	v_sub_f16_sdwa v5, v9, v5 dst_sel:DWORD dst_unused:UNUSED_PAD src0_sel:WORD_1 src1_sel:WORD_1
	v_mul_f16_e32 v7, 0.5, v7
	v_mul_f16_e32 v9, 0.5, v11
	;; [unrolled: 1-line block ×3, first 2 shown]
	s_waitcnt vmcnt(0)
	v_lshrrev_b32_e32 v11, 16, v4
	v_mul_f16_e32 v12, v11, v9
	v_fma_f16 v13, v7, v11, v5
	v_fma_f16 v5, v7, v11, -v5
	v_fma_f16 v11, v6, 0.5, v12
	v_fma_f16 v13, -v4, v9, v13
	v_fma_f16 v6, v6, 0.5, -v12
	v_fma_f16 v5, -v4, v9, v5
	v_fma_f16 v11, v4, v7, v11
	ds_write_b16 v10, v13 offset:2
	v_fma_f16 v12, -v4, v7, v6
	ds_write_b16 v8, v5 offset:1122
	v_mov_b64_e32 v[6:7], v[2:3]
                                        ; implicit-def: $vgpr9
.LBB0_19:
	s_andn2_saveexec_b64 s[0:1], s[0:1]
	s_cbranch_execz .LBB0_21
; %bb.20:
	v_mov_b32_e32 v3, 0
	ds_write_b16 v10, v3 offset:2
	ds_write_b16 v8, v3 offset:1122
	ds_read_u16 v4, v3 offset:562
	s_waitcnt lgkmcnt(3)
	v_add_f16_sdwa v11, v9, v9 dst_sel:DWORD dst_unused:UNUSED_PAD src0_sel:WORD_1 src1_sel:DWORD
	v_sub_f16_sdwa v12, v9, v9 dst_sel:DWORD dst_unused:UNUSED_PAD src0_sel:DWORD src1_sel:WORD_1
	v_mov_b64_e32 v[6:7], 0
	s_waitcnt lgkmcnt(0)
	v_xor_b32_e32 v4, 0x8000, v4
	ds_write_b16 v3, v4 offset:562
.LBB0_21:
	s_or_b64 exec, exec, s[0:1]
	s_add_u32 s0, s4, 0x440
	s_addc_u32 s1, s5, 0
	v_lshl_add_u64 v[4:5], v[6:7], 2, s[0:1]
	global_load_dword v3, v[4:5], off offset:224
	ds_write_b16 v10, v11
	ds_write_b16 v8, v12 offset:1120
	s_waitcnt lgkmcnt(2)
	ds_read_b32 v9, v10 offset:224
	ds_read_b32 v11, v8 offset:896
	s_mov_b32 s4, 0xffff
	v_cmp_gt_u32_e64 s[0:1], 28, v2
	s_waitcnt lgkmcnt(0)
	v_pk_add_f16 v12, v9, v11 neg_lo:[0,1] neg_hi:[0,1]
	v_pk_add_f16 v9, v9, v11
	s_nop 0
	v_bfi_b32 v11, s4, v12, v9
	v_bfi_b32 v9, s4, v9, v12
	v_pk_mul_f16 v11, v11, 0.5 op_sel_hi:[1,0]
	v_pk_mul_f16 v9, v9, 0.5 op_sel_hi:[1,0]
	s_waitcnt vmcnt(0)
	v_pk_mul_f16 v13, v3, v11 op_sel_hi:[0,1]
	v_pk_fma_f16 v12, v3, v11, v9 op_sel:[1,0,0]
	v_pk_fma_f16 v14, v3, v11, v9 op_sel:[1,0,0] neg_lo:[1,0,0] neg_hi:[1,0,0]
	v_pk_fma_f16 v3, v3, v11, v9 op_sel:[1,0,0] neg_lo:[0,0,1] neg_hi:[0,0,1]
	v_pk_add_f16 v9, v12, v13 op_sel:[0,1] op_sel_hi:[1,0]
	v_pk_add_f16 v11, v12, v13 op_sel:[0,1] op_sel_hi:[1,0] neg_lo:[0,1] neg_hi:[0,1]
	v_pk_add_f16 v12, v14, v13 op_sel:[0,1] op_sel_hi:[1,0] neg_lo:[0,1] neg_hi:[0,1]
	;; [unrolled: 1-line block ×3, first 2 shown]
	v_bfi_b32 v9, s4, v9, v11
	v_bfi_b32 v3, s4, v12, v3
	ds_write_b32 v10, v9 offset:224
	ds_write_b32 v8, v3 offset:896
	s_and_saveexec_b64 s[2:3], s[0:1]
	s_cbranch_execz .LBB0_23
; %bb.22:
	global_load_dword v3, v[4:5], off offset:448
	ds_read_b32 v4, v10 offset:448
	ds_read_b32 v5, v8 offset:672
	s_waitcnt lgkmcnt(0)
	v_pk_add_f16 v9, v4, v5 neg_lo:[0,1] neg_hi:[0,1]
	v_pk_add_f16 v4, v4, v5
	s_nop 0
	v_bfi_b32 v5, s4, v9, v4
	v_bfi_b32 v4, s4, v4, v9
	v_pk_mul_f16 v5, v5, 0.5 op_sel_hi:[1,0]
	v_pk_mul_f16 v4, v4, 0.5 op_sel_hi:[1,0]
	s_waitcnt vmcnt(0)
	v_pk_mul_f16 v11, v3, v5 op_sel_hi:[0,1]
	v_pk_fma_f16 v9, v3, v5, v4 op_sel:[1,0,0]
	v_pk_fma_f16 v12, v3, v5, v4 op_sel:[1,0,0] neg_lo:[1,0,0] neg_hi:[1,0,0]
	v_pk_fma_f16 v3, v3, v5, v4 op_sel:[1,0,0] neg_lo:[0,0,1] neg_hi:[0,0,1]
	v_pk_add_f16 v4, v9, v11 op_sel:[0,1] op_sel_hi:[1,0]
	v_pk_add_f16 v5, v9, v11 op_sel:[0,1] op_sel_hi:[1,0] neg_lo:[0,1] neg_hi:[0,1]
	v_pk_add_f16 v9, v12, v11 op_sel:[0,1] op_sel_hi:[1,0] neg_lo:[0,1] neg_hi:[0,1]
	;; [unrolled: 1-line block ×3, first 2 shown]
	v_bfi_b32 v4, s4, v4, v5
	v_bfi_b32 v3, s4, v9, v3
	ds_write_b32 v10, v4 offset:448
	ds_write_b32 v8, v3 offset:672
.LBB0_23:
	s_or_b64 exec, exec, s[2:3]
	s_waitcnt lgkmcnt(0)
	; wave barrier
	s_waitcnt lgkmcnt(0)
	s_and_saveexec_b64 s[0:1], vcc
	s_cbranch_execz .LBB0_26
; %bb.24:
	ds_read2_b32 v[4:5], v10 offset1:56
	ds_read2_b32 v[8:9], v10 offset0:112 offset1:168
	v_lshl_add_u64 v[6:7], v[6:7], 2, v[0:1]
	ds_read_b32 v3, v10 offset:896
	v_cmp_eq_u32_e32 vcc, 55, v2
	s_waitcnt lgkmcnt(2)
	global_store_dword v[6:7], v4, off
	global_store_dword v[6:7], v5, off offset:224
	s_waitcnt lgkmcnt(1)
	global_store_dword v[6:7], v8, off offset:448
	global_store_dword v[6:7], v9, off offset:672
	s_waitcnt lgkmcnt(0)
	global_store_dword v[6:7], v3, off offset:896
	s_and_b64 exec, exec, vcc
	s_cbranch_execz .LBB0_26
; %bb.25:
	v_mov_b32_e32 v2, 0
	ds_read_b32 v2, v2 offset:1120
	s_waitcnt lgkmcnt(0)
	global_store_dword v[0:1], v2, off offset:1120
.LBB0_26:
	s_endpgm
	.section	.rodata,"a",@progbits
	.p2align	6, 0x0
	.amdhsa_kernel fft_rtc_back_len280_factors_8_7_5_wgs_56_tpt_56_half_ip_CI_unitstride_sbrr_R2C_dirReg
		.amdhsa_group_segment_fixed_size 0
		.amdhsa_private_segment_fixed_size 0
		.amdhsa_kernarg_size 88
		.amdhsa_user_sgpr_count 2
		.amdhsa_user_sgpr_dispatch_ptr 0
		.amdhsa_user_sgpr_queue_ptr 0
		.amdhsa_user_sgpr_kernarg_segment_ptr 1
		.amdhsa_user_sgpr_dispatch_id 0
		.amdhsa_user_sgpr_kernarg_preload_length 0
		.amdhsa_user_sgpr_kernarg_preload_offset 0
		.amdhsa_user_sgpr_private_segment_size 0
		.amdhsa_uses_dynamic_stack 0
		.amdhsa_enable_private_segment 0
		.amdhsa_system_sgpr_workgroup_id_x 1
		.amdhsa_system_sgpr_workgroup_id_y 0
		.amdhsa_system_sgpr_workgroup_id_z 0
		.amdhsa_system_sgpr_workgroup_info 0
		.amdhsa_system_vgpr_workitem_id 0
		.amdhsa_next_free_vgpr 35
		.amdhsa_next_free_sgpr 22
		.amdhsa_accum_offset 36
		.amdhsa_reserve_vcc 1
		.amdhsa_float_round_mode_32 0
		.amdhsa_float_round_mode_16_64 0
		.amdhsa_float_denorm_mode_32 3
		.amdhsa_float_denorm_mode_16_64 3
		.amdhsa_dx10_clamp 1
		.amdhsa_ieee_mode 1
		.amdhsa_fp16_overflow 0
		.amdhsa_tg_split 0
		.amdhsa_exception_fp_ieee_invalid_op 0
		.amdhsa_exception_fp_denorm_src 0
		.amdhsa_exception_fp_ieee_div_zero 0
		.amdhsa_exception_fp_ieee_overflow 0
		.amdhsa_exception_fp_ieee_underflow 0
		.amdhsa_exception_fp_ieee_inexact 0
		.amdhsa_exception_int_div_zero 0
	.end_amdhsa_kernel
	.text
.Lfunc_end0:
	.size	fft_rtc_back_len280_factors_8_7_5_wgs_56_tpt_56_half_ip_CI_unitstride_sbrr_R2C_dirReg, .Lfunc_end0-fft_rtc_back_len280_factors_8_7_5_wgs_56_tpt_56_half_ip_CI_unitstride_sbrr_R2C_dirReg
                                        ; -- End function
	.section	.AMDGPU.csdata,"",@progbits
; Kernel info:
; codeLenInByte = 4416
; NumSgprs: 28
; NumVgprs: 35
; NumAgprs: 0
; TotalNumVgprs: 35
; ScratchSize: 0
; MemoryBound: 0
; FloatMode: 240
; IeeeMode: 1
; LDSByteSize: 0 bytes/workgroup (compile time only)
; SGPRBlocks: 3
; VGPRBlocks: 4
; NumSGPRsForWavesPerEU: 28
; NumVGPRsForWavesPerEU: 35
; AccumOffset: 36
; Occupancy: 8
; WaveLimiterHint : 1
; COMPUTE_PGM_RSRC2:SCRATCH_EN: 0
; COMPUTE_PGM_RSRC2:USER_SGPR: 2
; COMPUTE_PGM_RSRC2:TRAP_HANDLER: 0
; COMPUTE_PGM_RSRC2:TGID_X_EN: 1
; COMPUTE_PGM_RSRC2:TGID_Y_EN: 0
; COMPUTE_PGM_RSRC2:TGID_Z_EN: 0
; COMPUTE_PGM_RSRC2:TIDIG_COMP_CNT: 0
; COMPUTE_PGM_RSRC3_GFX90A:ACCUM_OFFSET: 8
; COMPUTE_PGM_RSRC3_GFX90A:TG_SPLIT: 0
	.text
	.p2alignl 6, 3212836864
	.fill 256, 4, 3212836864
	.type	__hip_cuid_9ae8efd15f2fc15f,@object ; @__hip_cuid_9ae8efd15f2fc15f
	.section	.bss,"aw",@nobits
	.globl	__hip_cuid_9ae8efd15f2fc15f
__hip_cuid_9ae8efd15f2fc15f:
	.byte	0                               ; 0x0
	.size	__hip_cuid_9ae8efd15f2fc15f, 1

	.ident	"AMD clang version 19.0.0git (https://github.com/RadeonOpenCompute/llvm-project roc-6.4.0 25133 c7fe45cf4b819c5991fe208aaa96edf142730f1d)"
	.section	".note.GNU-stack","",@progbits
	.addrsig
	.addrsig_sym __hip_cuid_9ae8efd15f2fc15f
	.amdgpu_metadata
---
amdhsa.kernels:
  - .agpr_count:     0
    .args:
      - .actual_access:  read_only
        .address_space:  global
        .offset:         0
        .size:           8
        .value_kind:     global_buffer
      - .offset:         8
        .size:           8
        .value_kind:     by_value
      - .actual_access:  read_only
        .address_space:  global
        .offset:         16
        .size:           8
        .value_kind:     global_buffer
      - .actual_access:  read_only
        .address_space:  global
        .offset:         24
        .size:           8
        .value_kind:     global_buffer
      - .offset:         32
        .size:           8
        .value_kind:     by_value
      - .actual_access:  read_only
        .address_space:  global
        .offset:         40
        .size:           8
        .value_kind:     global_buffer
      - .actual_access:  read_only
        .address_space:  global
        .offset:         48
        .size:           8
        .value_kind:     global_buffer
      - .offset:         56
        .size:           4
        .value_kind:     by_value
      - .actual_access:  read_only
        .address_space:  global
        .offset:         64
        .size:           8
        .value_kind:     global_buffer
      - .actual_access:  read_only
        .address_space:  global
        .offset:         72
        .size:           8
        .value_kind:     global_buffer
      - .address_space:  global
        .offset:         80
        .size:           8
        .value_kind:     global_buffer
    .group_segment_fixed_size: 0
    .kernarg_segment_align: 8
    .kernarg_segment_size: 88
    .language:       OpenCL C
    .language_version:
      - 2
      - 0
    .max_flat_workgroup_size: 56
    .name:           fft_rtc_back_len280_factors_8_7_5_wgs_56_tpt_56_half_ip_CI_unitstride_sbrr_R2C_dirReg
    .private_segment_fixed_size: 0
    .sgpr_count:     28
    .sgpr_spill_count: 0
    .symbol:         fft_rtc_back_len280_factors_8_7_5_wgs_56_tpt_56_half_ip_CI_unitstride_sbrr_R2C_dirReg.kd
    .uniform_work_group_size: 1
    .uses_dynamic_stack: false
    .vgpr_count:     35
    .vgpr_spill_count: 0
    .wavefront_size: 64
amdhsa.target:   amdgcn-amd-amdhsa--gfx950
amdhsa.version:
  - 1
  - 2
...

	.end_amdgpu_metadata
